;; amdgpu-corpus repo=ROCm/rocFFT kind=compiled arch=gfx1100 opt=O3
	.text
	.amdgcn_target "amdgcn-amd-amdhsa--gfx1100"
	.amdhsa_code_object_version 6
	.protected	fft_rtc_fwd_len22_factors_11_2_wgs_64_tpt_2_halfLds_dp_op_CI_CI_unitstride_sbrr_dirReg ; -- Begin function fft_rtc_fwd_len22_factors_11_2_wgs_64_tpt_2_halfLds_dp_op_CI_CI_unitstride_sbrr_dirReg
	.globl	fft_rtc_fwd_len22_factors_11_2_wgs_64_tpt_2_halfLds_dp_op_CI_CI_unitstride_sbrr_dirReg
	.p2align	8
	.type	fft_rtc_fwd_len22_factors_11_2_wgs_64_tpt_2_halfLds_dp_op_CI_CI_unitstride_sbrr_dirReg,@function
fft_rtc_fwd_len22_factors_11_2_wgs_64_tpt_2_halfLds_dp_op_CI_CI_unitstride_sbrr_dirReg: ; @fft_rtc_fwd_len22_factors_11_2_wgs_64_tpt_2_halfLds_dp_op_CI_CI_unitstride_sbrr_dirReg
; %bb.0:
	s_clause 0x2
	s_load_b128 s[4:7], s[0:1], 0x0
	s_load_b128 s[8:11], s[0:1], 0x58
	;; [unrolled: 1-line block ×3, first 2 shown]
	v_lshrrev_b32_e32 v14, 1, v0
	v_dual_mov_b32 v1, 0 :: v_dual_mov_b32 v4, 0
	v_mov_b32_e32 v5, 0
	s_delay_alu instid0(VALU_DEP_3) | instskip(NEXT) | instid1(VALU_DEP_3)
	v_lshl_or_b32 v6, s15, 5, v14
	v_mov_b32_e32 v7, v1
	s_waitcnt lgkmcnt(0)
	v_cmp_lt_u64_e64 s2, s[6:7], 2
	s_delay_alu instid0(VALU_DEP_1)
	s_and_b32 vcc_lo, exec_lo, s2
	s_cbranch_vccnz .LBB0_8
; %bb.1:
	s_load_b64 s[2:3], s[0:1], 0x10
	v_mov_b32_e32 v4, 0
	v_mov_b32_e32 v5, 0
	s_add_u32 s12, s18, 8
	s_addc_u32 s13, s19, 0
	s_add_u32 s14, s16, 8
	s_addc_u32 s15, s17, 0
	v_dual_mov_b32 v57, v5 :: v_dual_mov_b32 v56, v4
	s_mov_b64 s[22:23], 1
	s_waitcnt lgkmcnt(0)
	s_add_u32 s20, s2, 8
	s_addc_u32 s21, s3, 0
.LBB0_2:                                ; =>This Inner Loop Header: Depth=1
	s_load_b64 s[24:25], s[20:21], 0x0
                                        ; implicit-def: $vgpr60_vgpr61
	s_mov_b32 s2, exec_lo
	s_waitcnt lgkmcnt(0)
	v_or_b32_e32 v2, s25, v7
	s_delay_alu instid0(VALU_DEP_1)
	v_cmpx_ne_u64_e32 0, v[1:2]
	s_xor_b32 s3, exec_lo, s2
	s_cbranch_execz .LBB0_4
; %bb.3:                                ;   in Loop: Header=BB0_2 Depth=1
	v_cvt_f32_u32_e32 v2, s24
	v_cvt_f32_u32_e32 v3, s25
	s_sub_u32 s2, 0, s24
	s_subb_u32 s26, 0, s25
	s_delay_alu instid0(VALU_DEP_1) | instskip(NEXT) | instid1(VALU_DEP_1)
	v_fmac_f32_e32 v2, 0x4f800000, v3
	v_rcp_f32_e32 v2, v2
	s_waitcnt_depctr 0xfff
	v_mul_f32_e32 v2, 0x5f7ffffc, v2
	s_delay_alu instid0(VALU_DEP_1) | instskip(NEXT) | instid1(VALU_DEP_1)
	v_mul_f32_e32 v3, 0x2f800000, v2
	v_trunc_f32_e32 v3, v3
	s_delay_alu instid0(VALU_DEP_1) | instskip(SKIP_1) | instid1(VALU_DEP_2)
	v_fmac_f32_e32 v2, 0xcf800000, v3
	v_cvt_u32_f32_e32 v3, v3
	v_cvt_u32_f32_e32 v2, v2
	s_delay_alu instid0(VALU_DEP_2) | instskip(NEXT) | instid1(VALU_DEP_2)
	v_mul_lo_u32 v8, s2, v3
	v_mul_hi_u32 v9, s2, v2
	v_mul_lo_u32 v10, s26, v2
	s_delay_alu instid0(VALU_DEP_2) | instskip(SKIP_1) | instid1(VALU_DEP_2)
	v_add_nc_u32_e32 v8, v9, v8
	v_mul_lo_u32 v9, s2, v2
	v_add_nc_u32_e32 v8, v8, v10
	s_delay_alu instid0(VALU_DEP_2) | instskip(NEXT) | instid1(VALU_DEP_2)
	v_mul_hi_u32 v10, v2, v9
	v_mul_lo_u32 v11, v2, v8
	v_mul_hi_u32 v12, v2, v8
	v_mul_hi_u32 v13, v3, v9
	v_mul_lo_u32 v9, v3, v9
	v_mul_hi_u32 v15, v3, v8
	v_mul_lo_u32 v8, v3, v8
	v_add_co_u32 v10, vcc_lo, v10, v11
	v_add_co_ci_u32_e32 v11, vcc_lo, 0, v12, vcc_lo
	s_delay_alu instid0(VALU_DEP_2) | instskip(NEXT) | instid1(VALU_DEP_2)
	v_add_co_u32 v9, vcc_lo, v10, v9
	v_add_co_ci_u32_e32 v9, vcc_lo, v11, v13, vcc_lo
	v_add_co_ci_u32_e32 v10, vcc_lo, 0, v15, vcc_lo
	s_delay_alu instid0(VALU_DEP_2) | instskip(NEXT) | instid1(VALU_DEP_2)
	v_add_co_u32 v8, vcc_lo, v9, v8
	v_add_co_ci_u32_e32 v9, vcc_lo, 0, v10, vcc_lo
	s_delay_alu instid0(VALU_DEP_2) | instskip(NEXT) | instid1(VALU_DEP_2)
	v_add_co_u32 v2, vcc_lo, v2, v8
	v_add_co_ci_u32_e32 v3, vcc_lo, v3, v9, vcc_lo
	s_delay_alu instid0(VALU_DEP_2) | instskip(SKIP_1) | instid1(VALU_DEP_3)
	v_mul_hi_u32 v8, s2, v2
	v_mul_lo_u32 v10, s26, v2
	v_mul_lo_u32 v9, s2, v3
	s_delay_alu instid0(VALU_DEP_1) | instskip(SKIP_1) | instid1(VALU_DEP_2)
	v_add_nc_u32_e32 v8, v8, v9
	v_mul_lo_u32 v9, s2, v2
	v_add_nc_u32_e32 v8, v8, v10
	s_delay_alu instid0(VALU_DEP_2) | instskip(NEXT) | instid1(VALU_DEP_2)
	v_mul_hi_u32 v10, v2, v9
	v_mul_lo_u32 v11, v2, v8
	v_mul_hi_u32 v12, v2, v8
	v_mul_hi_u32 v13, v3, v9
	v_mul_lo_u32 v9, v3, v9
	v_mul_hi_u32 v15, v3, v8
	v_mul_lo_u32 v8, v3, v8
	v_add_co_u32 v10, vcc_lo, v10, v11
	v_add_co_ci_u32_e32 v11, vcc_lo, 0, v12, vcc_lo
	s_delay_alu instid0(VALU_DEP_2) | instskip(NEXT) | instid1(VALU_DEP_2)
	v_add_co_u32 v9, vcc_lo, v10, v9
	v_add_co_ci_u32_e32 v9, vcc_lo, v11, v13, vcc_lo
	v_add_co_ci_u32_e32 v10, vcc_lo, 0, v15, vcc_lo
	s_delay_alu instid0(VALU_DEP_2) | instskip(NEXT) | instid1(VALU_DEP_2)
	v_add_co_u32 v8, vcc_lo, v9, v8
	v_add_co_ci_u32_e32 v9, vcc_lo, 0, v10, vcc_lo
	s_delay_alu instid0(VALU_DEP_2) | instskip(NEXT) | instid1(VALU_DEP_2)
	v_add_co_u32 v10, vcc_lo, v2, v8
	v_add_co_ci_u32_e32 v12, vcc_lo, v3, v9, vcc_lo
	s_delay_alu instid0(VALU_DEP_2) | instskip(SKIP_1) | instid1(VALU_DEP_3)
	v_mul_hi_u32 v13, v6, v10
	v_mad_u64_u32 v[8:9], null, v7, v10, 0
	v_mad_u64_u32 v[2:3], null, v6, v12, 0
	v_mad_u64_u32 v[10:11], null, v7, v12, 0
	s_delay_alu instid0(VALU_DEP_2) | instskip(NEXT) | instid1(VALU_DEP_3)
	v_add_co_u32 v2, vcc_lo, v13, v2
	v_add_co_ci_u32_e32 v3, vcc_lo, 0, v3, vcc_lo
	s_delay_alu instid0(VALU_DEP_2) | instskip(NEXT) | instid1(VALU_DEP_2)
	v_add_co_u32 v2, vcc_lo, v2, v8
	v_add_co_ci_u32_e32 v2, vcc_lo, v3, v9, vcc_lo
	v_add_co_ci_u32_e32 v3, vcc_lo, 0, v11, vcc_lo
	s_delay_alu instid0(VALU_DEP_2) | instskip(NEXT) | instid1(VALU_DEP_2)
	v_add_co_u32 v8, vcc_lo, v2, v10
	v_add_co_ci_u32_e32 v9, vcc_lo, 0, v3, vcc_lo
	s_delay_alu instid0(VALU_DEP_2) | instskip(SKIP_1) | instid1(VALU_DEP_3)
	v_mul_lo_u32 v10, s25, v8
	v_mad_u64_u32 v[2:3], null, s24, v8, 0
	v_mul_lo_u32 v11, s24, v9
	s_delay_alu instid0(VALU_DEP_2) | instskip(NEXT) | instid1(VALU_DEP_2)
	v_sub_co_u32 v2, vcc_lo, v6, v2
	v_add3_u32 v3, v3, v11, v10
	s_delay_alu instid0(VALU_DEP_1) | instskip(NEXT) | instid1(VALU_DEP_1)
	v_sub_nc_u32_e32 v10, v7, v3
	v_subrev_co_ci_u32_e64 v10, s2, s25, v10, vcc_lo
	v_add_co_u32 v11, s2, v8, 2
	s_delay_alu instid0(VALU_DEP_1) | instskip(SKIP_3) | instid1(VALU_DEP_3)
	v_add_co_ci_u32_e64 v12, s2, 0, v9, s2
	v_sub_co_u32 v13, s2, v2, s24
	v_sub_co_ci_u32_e32 v3, vcc_lo, v7, v3, vcc_lo
	v_subrev_co_ci_u32_e64 v10, s2, 0, v10, s2
	v_cmp_le_u32_e32 vcc_lo, s24, v13
	s_delay_alu instid0(VALU_DEP_3) | instskip(SKIP_1) | instid1(VALU_DEP_4)
	v_cmp_eq_u32_e64 s2, s25, v3
	v_cndmask_b32_e64 v13, 0, -1, vcc_lo
	v_cmp_le_u32_e32 vcc_lo, s25, v10
	v_cndmask_b32_e64 v15, 0, -1, vcc_lo
	v_cmp_le_u32_e32 vcc_lo, s24, v2
	;; [unrolled: 2-line block ×3, first 2 shown]
	v_cndmask_b32_e64 v16, 0, -1, vcc_lo
	v_cmp_eq_u32_e32 vcc_lo, s25, v10
	s_delay_alu instid0(VALU_DEP_2) | instskip(SKIP_3) | instid1(VALU_DEP_3)
	v_cndmask_b32_e64 v2, v16, v2, s2
	v_cndmask_b32_e32 v10, v15, v13, vcc_lo
	v_add_co_u32 v13, vcc_lo, v8, 1
	v_add_co_ci_u32_e32 v15, vcc_lo, 0, v9, vcc_lo
	v_cmp_ne_u32_e32 vcc_lo, 0, v10
	s_delay_alu instid0(VALU_DEP_2) | instskip(SKIP_1) | instid1(VALU_DEP_2)
	v_dual_cndmask_b32 v3, v15, v12 :: v_dual_cndmask_b32 v10, v13, v11
	v_cmp_ne_u32_e32 vcc_lo, 0, v2
	v_dual_cndmask_b32 v61, v9, v3 :: v_dual_cndmask_b32 v60, v8, v10
.LBB0_4:                                ;   in Loop: Header=BB0_2 Depth=1
	s_and_not1_saveexec_b32 s2, s3
	s_cbranch_execz .LBB0_6
; %bb.5:                                ;   in Loop: Header=BB0_2 Depth=1
	v_cvt_f32_u32_e32 v2, s24
	s_sub_i32 s3, 0, s24
	v_mov_b32_e32 v61, v1
	s_delay_alu instid0(VALU_DEP_2) | instskip(SKIP_2) | instid1(VALU_DEP_1)
	v_rcp_iflag_f32_e32 v2, v2
	s_waitcnt_depctr 0xfff
	v_mul_f32_e32 v2, 0x4f7ffffe, v2
	v_cvt_u32_f32_e32 v2, v2
	s_delay_alu instid0(VALU_DEP_1) | instskip(NEXT) | instid1(VALU_DEP_1)
	v_mul_lo_u32 v3, s3, v2
	v_mul_hi_u32 v3, v2, v3
	s_delay_alu instid0(VALU_DEP_1) | instskip(NEXT) | instid1(VALU_DEP_1)
	v_add_nc_u32_e32 v2, v2, v3
	v_mul_hi_u32 v2, v6, v2
	s_delay_alu instid0(VALU_DEP_1) | instskip(SKIP_1) | instid1(VALU_DEP_2)
	v_mul_lo_u32 v3, v2, s24
	v_add_nc_u32_e32 v8, 1, v2
	v_sub_nc_u32_e32 v3, v6, v3
	s_delay_alu instid0(VALU_DEP_1) | instskip(SKIP_1) | instid1(VALU_DEP_2)
	v_subrev_nc_u32_e32 v9, s24, v3
	v_cmp_le_u32_e32 vcc_lo, s24, v3
	v_dual_cndmask_b32 v3, v3, v9 :: v_dual_cndmask_b32 v2, v2, v8
	s_delay_alu instid0(VALU_DEP_1) | instskip(NEXT) | instid1(VALU_DEP_2)
	v_cmp_le_u32_e32 vcc_lo, s24, v3
	v_add_nc_u32_e32 v8, 1, v2
	s_delay_alu instid0(VALU_DEP_1)
	v_cndmask_b32_e32 v60, v2, v8, vcc_lo
.LBB0_6:                                ;   in Loop: Header=BB0_2 Depth=1
	s_or_b32 exec_lo, exec_lo, s2
	s_delay_alu instid0(VALU_DEP_1) | instskip(NEXT) | instid1(VALU_DEP_2)
	v_mul_lo_u32 v8, v61, s24
	v_mul_lo_u32 v9, v60, s25
	s_load_b64 s[2:3], s[14:15], 0x0
	v_mad_u64_u32 v[2:3], null, v60, s24, 0
	s_load_b64 s[24:25], s[12:13], 0x0
	s_add_u32 s22, s22, 1
	s_addc_u32 s23, s23, 0
	s_add_u32 s12, s12, 8
	s_addc_u32 s13, s13, 0
	s_add_u32 s14, s14, 8
	s_delay_alu instid0(VALU_DEP_1) | instskip(SKIP_3) | instid1(VALU_DEP_2)
	v_add3_u32 v3, v3, v9, v8
	v_sub_co_u32 v8, vcc_lo, v6, v2
	s_addc_u32 s15, s15, 0
	s_add_u32 s20, s20, 8
	v_sub_co_ci_u32_e32 v6, vcc_lo, v7, v3, vcc_lo
	s_addc_u32 s21, s21, 0
	s_waitcnt lgkmcnt(0)
	s_delay_alu instid0(VALU_DEP_1)
	v_mul_lo_u32 v9, s2, v6
	v_mul_lo_u32 v10, s3, v8
	v_mad_u64_u32 v[2:3], null, s2, v8, v[4:5]
	v_mul_lo_u32 v11, s24, v6
	v_mul_lo_u32 v12, s25, v8
	v_mad_u64_u32 v[6:7], null, s24, v8, v[56:57]
	v_cmp_ge_u64_e64 s2, s[22:23], s[6:7]
	v_add3_u32 v5, v10, v3, v9
	v_mov_b32_e32 v4, v2
	s_delay_alu instid0(VALU_DEP_4)
	v_add3_u32 v57, v12, v7, v11
	v_mov_b32_e32 v56, v6
	s_and_b32 vcc_lo, exec_lo, s2
	s_cbranch_vccnz .LBB0_9
; %bb.7:                                ;   in Loop: Header=BB0_2 Depth=1
	v_dual_mov_b32 v6, v60 :: v_dual_mov_b32 v7, v61
	s_branch .LBB0_2
.LBB0_8:
	v_dual_mov_b32 v57, v5 :: v_dual_mov_b32 v56, v4
	v_dual_mov_b32 v61, v7 :: v_dual_mov_b32 v60, v6
.LBB0_9:
	s_load_b64 s[0:1], s[0:1], 0x28
	s_lshl_b64 s[6:7], s[6:7], 3
	v_and_b32_e32 v58, 1, v0
	s_add_u32 s2, s18, s6
	s_addc_u32 s3, s19, s7
                                        ; implicit-def: $vgpr64
                                        ; implicit-def: $vgpr65
                                        ; implicit-def: $vgpr67
                                        ; implicit-def: $vgpr62
	s_waitcnt lgkmcnt(0)
	v_cmp_gt_u64_e32 vcc_lo, s[0:1], v[60:61]
	v_cmp_le_u64_e64 s0, s[0:1], v[60:61]
	s_delay_alu instid0(VALU_DEP_1) | instskip(NEXT) | instid1(SALU_CYCLE_1)
	s_and_saveexec_b32 s1, s0
	s_xor_b32 s0, exec_lo, s1
; %bb.10:
	v_and_b32_e32 v58, 1, v0
                                        ; implicit-def: $vgpr4_vgpr5
	s_delay_alu instid0(VALU_DEP_1)
	v_or_b32_e32 v64, 2, v58
	v_or_b32_e32 v65, 4, v58
	;; [unrolled: 1-line block ×4, first 2 shown]
; %bb.11:
	s_or_saveexec_b32 s1, s0
                                        ; implicit-def: $vgpr2_vgpr3
                                        ; implicit-def: $vgpr6_vgpr7
                                        ; implicit-def: $vgpr10_vgpr11
                                        ; implicit-def: $vgpr30_vgpr31
                                        ; implicit-def: $vgpr26_vgpr27
                                        ; implicit-def: $vgpr18_vgpr19
                                        ; implicit-def: $vgpr34_vgpr35
                                        ; implicit-def: $vgpr38_vgpr39
                                        ; implicit-def: $vgpr42_vgpr43
                                        ; implicit-def: $vgpr46_vgpr47
                                        ; implicit-def: $vgpr22_vgpr23
	s_delay_alu instid0(SALU_CYCLE_1)
	s_xor_b32 exec_lo, exec_lo, s1
	s_cbranch_execz .LBB0_13
; %bb.12:
	s_add_u32 s6, s16, s6
	s_addc_u32 s7, s17, s7
	v_or_b32_e32 v64, 2, v58
	s_load_b64 s[6:7], s[6:7], 0x0
	v_or_b32_e32 v65, 4, v58
	v_or_b32_e32 v67, 6, v58
	;; [unrolled: 1-line block ×3, first 2 shown]
	s_waitcnt lgkmcnt(0)
	v_mul_lo_u32 v2, s7, v60
	v_mul_lo_u32 v3, s6, v61
	v_mad_u64_u32 v[0:1], null, s6, v60, 0
	s_delay_alu instid0(VALU_DEP_1) | instskip(SKIP_2) | instid1(VALU_DEP_3)
	v_add3_u32 v1, v1, v3, v2
	v_lshlrev_b64 v[2:3], 4, v[4:5]
	v_lshlrev_b32_e32 v4, 4, v58
	v_lshlrev_b64 v[0:1], 4, v[0:1]
	s_delay_alu instid0(VALU_DEP_1) | instskip(NEXT) | instid1(VALU_DEP_1)
	v_add_co_u32 v0, s0, s8, v0
	v_add_co_ci_u32_e64 v1, s0, s9, v1, s0
	s_delay_alu instid0(VALU_DEP_2) | instskip(NEXT) | instid1(VALU_DEP_1)
	v_add_co_u32 v0, s0, v0, v2
	v_add_co_ci_u32_e64 v1, s0, v1, v3, s0
	s_delay_alu instid0(VALU_DEP_2) | instskip(NEXT) | instid1(VALU_DEP_1)
	v_add_co_u32 v0, s0, v0, v4
	v_add_co_ci_u32_e64 v1, s0, 0, v1, s0
	s_clause 0xa
	global_load_b128 v[20:23], v[0:1], off
	global_load_b128 v[44:47], v[0:1], off offset:32
	global_load_b128 v[40:43], v[0:1], off offset:64
	;; [unrolled: 1-line block ×10, first 2 shown]
.LBB0_13:
	s_or_b32 exec_lo, exec_lo, s1
	s_waitcnt vmcnt(9)
	v_add_f64 v[12:13], v[44:45], v[20:21]
	s_waitcnt vmcnt(0)
	v_add_f64 v[48:49], v[0:1], v[44:45]
	s_mov_b32 s12, 0x8764f0ba
	s_mov_b32 s6, 0xd9c712b6
	;; [unrolled: 1-line block ×9, first 2 shown]
	v_add_f64 v[50:51], v[4:5], v[40:41]
	v_add_f64 v[52:53], v[46:47], -v[2:3]
	s_mov_b32 s9, 0xbfc2375f
	s_mov_b32 s24, 0xf8bb580b
	;; [unrolled: 1-line block ×18, first 2 shown]
	v_add_f64 v[74:75], v[42:43], -v[6:7]
	s_mov_b32 s31, 0x3fefac9e
	s_mov_b32 s19, 0xbfefac9e
	v_add_f64 v[76:77], v[8:9], v[36:37]
	s_mov_b32 s18, s30
	v_add_f64 v[96:97], v[28:29], v[32:33]
	v_mul_u32_u24_e32 v14, 22, v14
	v_add_f64 v[12:13], v[40:41], v[12:13]
	v_mul_f64 v[54:55], v[48:49], s[12:13]
	v_mul_f64 v[68:69], v[48:49], s[6:7]
	;; [unrolled: 1-line block ×5, first 2 shown]
	v_lshl_add_u32 v59, v14, 3, 0
	s_load_b64 s[2:3], s[2:3], 0x0
	v_mul_f64 v[78:79], v[50:51], s[6:7]
	v_mul_f64 v[80:81], v[50:51], s[14:15]
	;; [unrolled: 1-line block ×5, first 2 shown]
	v_mad_u32_u24 v63, 0x58, v58, v59
	v_lshl_add_u32 v66, v64, 3, v59
	v_mul_f64 v[98:99], v[76:77], s[8:9]
	v_mul_f64 v[100:101], v[76:77], s[16:17]
	;; [unrolled: 1-line block ×4, first 2 shown]
	v_add_f64 v[12:13], v[36:37], v[12:13]
	v_fma_f64 v[86:87], v[52:53], s[24:25], v[54:55]
	v_fma_f64 v[88:89], v[52:53], s[36:37], v[68:69]
	;; [unrolled: 1-line block ×10, first 2 shown]
	v_add_f64 v[52:53], v[38:39], -v[10:11]
	v_mul_f64 v[76:77], v[76:77], s[14:15]
	v_fma_f64 v[106:107], v[74:75], s[20:21], v[78:79]
	v_fma_f64 v[78:79], v[74:75], s[36:37], v[78:79]
	v_fma_f64 v[108:109], v[74:75], s[0:1], v[80:81]
	v_fma_f64 v[80:81], v[74:75], s[22:23], v[80:81]
	v_fma_f64 v[110:111], v[74:75], s[26:27], v[82:83]
	v_fma_f64 v[82:83], v[74:75], s[34:35], v[82:83]
	v_fma_f64 v[112:113], v[74:75], s[18:19], v[84:85]
	v_fma_f64 v[84:85], v[74:75], s[30:31], v[84:85]
	v_fma_f64 v[114:115], v[74:75], s[28:29], v[50:51]
	v_fma_f64 v[50:51], v[74:75], s[24:25], v[50:51]
	v_mul_f64 v[116:117], v[96:97], s[14:15]
	v_mul_f64 v[118:119], v[96:97], s[8:9]
	;; [unrolled: 1-line block ×5, first 2 shown]
	v_add_f64 v[12:13], v[32:33], v[12:13]
	v_add_f64 v[74:75], v[20:21], v[86:87]
	v_add_f64 v[86:87], v[20:21], v[88:89]
	v_add_f64 v[88:89], v[20:21], v[90:91]
	v_add_f64 v[54:55], v[20:21], v[54:55]
	v_add_f64 v[70:71], v[20:21], v[70:71]
	v_add_f64 v[90:91], v[20:21], v[92:93]
	v_add_f64 v[72:73], v[20:21], v[72:73]
	v_add_f64 v[92:93], v[20:21], v[94:95]
	v_add_f64 v[68:69], v[20:21], v[68:69]
	v_add_f64 v[20:21], v[20:21], v[48:49]
	v_add_f64 v[48:49], v[34:35], -v[30:31]
	v_add_f64 v[94:95], v[24:25], v[16:17]
	v_fma_f64 v[124:125], v[52:53], s[30:31], v[98:99]
	v_fma_f64 v[98:99], v[52:53], s[18:19], v[98:99]
	;; [unrolled: 1-line block ×10, first 2 shown]
	v_add_f64 v[12:13], v[16:17], v[12:13]
	v_add_f64 v[74:75], v[106:107], v[74:75]
	;; [unrolled: 1-line block ×11, first 2 shown]
	v_add_f64 v[82:83], v[18:19], -v[26:27]
	v_mul_f64 v[84:85], v[94:95], s[16:17]
	v_mul_f64 v[86:87], v[94:95], s[12:13]
	;; [unrolled: 1-line block ×5, first 2 shown]
	v_fma_f64 v[94:95], v[48:49], s[0:1], v[116:117]
	v_fma_f64 v[106:107], v[48:49], s[22:23], v[116:117]
	;; [unrolled: 1-line block ×10, first 2 shown]
	v_add_f64 v[12:13], v[24:25], v[12:13]
	v_add_f64 v[74:75], v[124:125], v[74:75]
	;; [unrolled: 1-line block ×11, first 2 shown]
	v_fma_f64 v[72:73], v[82:83], s[34:35], v[84:85]
	v_fma_f64 v[84:85], v[82:83], s[26:27], v[84:85]
	;; [unrolled: 1-line block ×10, first 2 shown]
	v_cmp_eq_u32_e64 s0, 0, v58
	v_add_f64 v[12:13], v[28:29], v[12:13]
	v_add_f64 v[74:75], v[94:95], v[74:75]
	;; [unrolled: 1-line block ×15, first 2 shown]
	v_mad_i32_i24 v80, 0xffffffb0, v58, v63
	v_lshl_add_u32 v81, v67, 3, v59
	v_add_f64 v[48:49], v[82:83], v[48:49]
	v_add_f64 v[50:51], v[88:89], v[50:51]
	;; [unrolled: 1-line block ×4, first 2 shown]
	v_lshl_add_u32 v82, v62, 3, v59
	v_add_f64 v[68:69], v[4:5], v[12:13]
	v_add_f64 v[12:13], v[84:85], v[54:55]
	;; [unrolled: 1-line block ×4, first 2 shown]
	v_lshl_add_u32 v79, v65, 3, v59
	v_add_f64 v[83:84], v[0:1], v[68:69]
	v_lshl_add_u32 v68, v58, 3, v59
	ds_store_2addr_b64 v63, v[76:77], v[70:71] offset0:4 offset1:5
	ds_store_2addr_b64 v63, v[48:49], v[54:55] offset0:6 offset1:7
	;; [unrolled: 1-line block ×3, first 2 shown]
	ds_store_b64 v63, v[12:13] offset:80
	ds_store_2addr_b64 v63, v[83:84], v[72:73] offset1:1
	ds_store_2addr_b64 v63, v[52:53], v[20:21] offset0:2 offset1:3
	s_waitcnt lgkmcnt(0)
	s_barrier
	buffer_gl0_inv
	ds_load_b64 v[69:70], v68
	ds_load_2addr_b64 v[48:51], v80 offset0:11 offset1:13
	ds_load_2addr_b64 v[52:55], v80 offset0:15 offset1:17
	ds_load_b64 v[20:21], v81
	ds_load_b64 v[75:76], v82
	;; [unrolled: 1-line block ×4, first 2 shown]
	ds_load_b64 v[77:78], v80 offset:152
	s_and_saveexec_b32 s1, s0
	s_cbranch_execz .LBB0_15
; %bb.14:
	ds_load_2addr_b64 v[12:15], v59 offset0:10 offset1:21
.LBB0_15:
	s_or_b32 exec_lo, exec_lo, s1
	v_add_f64 v[83:84], v[46:47], v[22:23]
	v_add_f64 v[0:1], v[44:45], -v[0:1]
	v_add_f64 v[4:5], v[40:41], -v[4:5]
	v_add_f64 v[40:41], v[2:3], v[46:47]
	v_add_f64 v[8:9], v[36:37], -v[8:9]
	v_add_f64 v[36:37], v[6:7], v[42:43]
	v_add_f64 v[28:29], v[32:33], -v[28:29]
	v_add_f64 v[16:17], v[16:17], -v[24:25]
	s_waitcnt lgkmcnt(0)
	s_barrier
	buffer_gl0_inv
	v_add_f64 v[83:84], v[42:43], v[83:84]
	v_mul_f64 v[46:47], v[0:1], s[28:29]
	v_mul_f64 v[85:86], v[0:1], s[22:23]
	;; [unrolled: 1-line block ×13, first 2 shown]
	v_add_f64 v[44:45], v[38:39], v[83:84]
	v_mul_f64 v[83:84], v[0:1], s[36:37]
	v_mul_f64 v[0:1], v[0:1], s[18:19]
	v_fma_f64 v[95:96], v[40:41], s[12:13], v[46:47]
	v_fma_f64 v[46:47], v[40:41], s[12:13], -v[46:47]
	v_fma_f64 v[99:100], v[40:41], s[14:15], v[85:86]
	v_fma_f64 v[101:102], v[40:41], s[16:17], v[87:88]
	v_fma_f64 v[85:86], v[40:41], s[14:15], -v[85:86]
	v_fma_f64 v[87:88], v[40:41], s[16:17], -v[87:88]
	v_add_f64 v[38:39], v[10:11], v[38:39]
	v_fma_f64 v[109:110], v[36:37], s[6:7], v[42:43]
	v_fma_f64 v[42:43], v[36:37], s[6:7], -v[42:43]
	v_fma_f64 v[111:112], v[36:37], s[14:15], v[89:90]
	v_fma_f64 v[89:90], v[36:37], s[14:15], -v[89:90]
	v_fma_f64 v[113:114], v[36:37], s[16:17], v[91:92]
	v_fma_f64 v[91:92], v[36:37], s[16:17], -v[91:92]
	v_fma_f64 v[115:116], v[36:37], s[8:9], v[93:94]
	v_fma_f64 v[93:94], v[36:37], s[8:9], -v[93:94]
	v_fma_f64 v[117:118], v[36:37], s[12:13], v[4:5]
	v_fma_f64 v[4:5], v[36:37], s[12:13], -v[4:5]
	v_add_f64 v[44:45], v[34:35], v[44:45]
	v_fma_f64 v[97:98], v[40:41], s[6:7], -v[83:84]
	v_fma_f64 v[103:104], v[40:41], s[8:9], -v[0:1]
	v_fma_f64 v[83:84], v[40:41], s[6:7], v[83:84]
	v_fma_f64 v[0:1], v[40:41], s[8:9], v[0:1]
	v_add_f64 v[36:37], v[22:23], v[95:96]
	v_add_f64 v[46:47], v[22:23], v[46:47]
	;; [unrolled: 1-line block ×5, first 2 shown]
	v_fma_f64 v[121:122], v[38:39], s[8:9], v[32:33]
	v_fma_f64 v[32:33], v[38:39], s[8:9], -v[32:33]
	v_fma_f64 v[125:126], v[38:39], s[6:7], v[105:106]
	v_fma_f64 v[105:106], v[38:39], s[6:7], -v[105:106]
	;; [unrolled: 2-line block ×3, first 2 shown]
	v_add_f64 v[40:41], v[18:19], v[44:45]
	v_mul_f64 v[44:45], v[8:9], s[34:35]
	v_mul_f64 v[8:9], v[8:9], s[22:23]
	v_add_f64 v[95:96], v[22:23], v[97:98]
	v_add_f64 v[97:98], v[22:23], v[99:100]
	;; [unrolled: 1-line block ×6, first 2 shown]
	v_mul_f64 v[103:104], v[28:29], s[28:29]
	v_add_f64 v[36:37], v[109:110], v[36:37]
	v_add_f64 v[85:86], v[93:94], v[85:86]
	;; [unrolled: 1-line block ×4, first 2 shown]
	v_mul_f64 v[93:94], v[16:17], s[20:21]
	v_fma_f64 v[109:110], v[34:35], s[16:17], -v[119:120]
	v_add_f64 v[22:23], v[26:27], v[40:41]
	v_mul_f64 v[40:41], v[28:29], s[30:31]
	v_mul_f64 v[28:29], v[28:29], s[20:21]
	v_fma_f64 v[123:124], v[38:39], s[16:17], v[44:45]
	v_fma_f64 v[44:45], v[38:39], s[16:17], -v[44:45]
	v_fma_f64 v[129:130], v[38:39], s[14:15], v[8:9]
	v_fma_f64 v[8:9], v[38:39], s[14:15], -v[8:9]
	v_add_f64 v[38:39], v[42:43], v[46:47]
	v_add_f64 v[42:43], v[89:90], v[95:96]
	;; [unrolled: 1-line block ×7, first 2 shown]
	v_mul_f64 v[26:27], v[16:17], s[26:27]
	v_mul_f64 v[91:92], v[16:17], s[22:23]
	v_fma_f64 v[95:96], v[34:35], s[14:15], v[24:25]
	v_fma_f64 v[24:25], v[34:35], s[14:15], -v[24:25]
	v_fma_f64 v[99:100], v[34:35], s[12:13], v[103:104]
	v_fma_f64 v[101:102], v[34:35], s[12:13], -v[103:104]
	v_fma_f64 v[103:104], v[34:35], s[16:17], v[119:120]
	v_add_f64 v[22:23], v[30:31], v[22:23]
	v_mul_f64 v[30:31], v[16:17], s[24:25]
	v_mul_f64 v[16:17], v[16:17], s[18:19]
	v_fma_f64 v[97:98], v[34:35], s[8:9], v[40:41]
	v_fma_f64 v[40:41], v[34:35], s[8:9], -v[40:41]
	v_fma_f64 v[111:112], v[34:35], s[6:7], v[28:29]
	v_fma_f64 v[28:29], v[34:35], s[6:7], -v[28:29]
	v_add_f64 v[34:35], v[121:122], v[36:37]
	v_add_f64 v[32:33], v[32:33], v[38:39]
	;; [unrolled: 1-line block ×10, first 2 shown]
	v_fma_f64 v[85:86], v[18:19], s[14:15], v[91:92]
	v_fma_f64 v[87:88], v[18:19], s[14:15], -v[91:92]
	v_fma_f64 v[89:90], v[18:19], s[6:7], v[93:94]
	v_fma_f64 v[91:92], v[18:19], s[6:7], -v[93:94]
	v_add_f64 v[10:11], v[10:11], v[22:23]
	v_fma_f64 v[22:23], v[18:19], s[16:17], v[26:27]
	v_fma_f64 v[26:27], v[18:19], s[16:17], -v[26:27]
	v_fma_f64 v[83:84], v[18:19], s[12:13], v[30:31]
	v_fma_f64 v[30:31], v[18:19], s[12:13], -v[30:31]
	v_fma_f64 v[93:94], v[18:19], s[8:9], v[16:17]
	v_fma_f64 v[16:17], v[18:19], s[8:9], -v[16:17]
	v_add_f64 v[18:19], v[95:96], v[34:35]
	v_add_f64 v[24:25], v[24:25], v[32:33]
	;; [unrolled: 1-line block ×22, first 2 shown]
	ds_store_2addr_b64 v63, v[22:23], v[26:27] offset0:4 offset1:5
	ds_store_2addr_b64 v63, v[4:5], v[24:25] offset0:6 offset1:7
	;; [unrolled: 1-line block ×3, first 2 shown]
	ds_store_b64 v63, v[0:1] offset:80
	ds_store_2addr_b64 v63, v[16:17], v[28:29] offset0:2 offset1:3
	ds_store_2addr_b64 v63, v[2:3], v[10:11] offset1:1
	s_waitcnt lgkmcnt(0)
	s_barrier
	buffer_gl0_inv
	ds_load_b64 v[22:23], v68
	ds_load_2addr_b64 v[4:7], v80 offset0:11 offset1:13
	ds_load_2addr_b64 v[8:11], v80 offset0:15 offset1:17
	ds_load_b64 v[18:19], v81
	ds_load_b64 v[28:29], v82
	ds_load_b64 v[24:25], v79
	ds_load_b64 v[26:27], v66
	ds_load_b64 v[30:31], v80 offset:152
	v_mov_b32_e32 v16, 0
	v_mov_b32_e32 v17, 0
	s_and_saveexec_b32 s1, s0
	s_cbranch_execz .LBB0_17
; %bb.16:
	ds_load_2addr_b64 v[0:3], v59 offset0:10 offset1:21
	v_mov_b32_e32 v16, 10
	v_mov_b32_e32 v17, 0
.LBB0_17:
	s_or_b32 exec_lo, exec_lo, s1
	s_and_saveexec_b32 s0, vcc_lo
	s_cbranch_execz .LBB0_20
; %bb.18:
	v_dual_mov_b32 v63, 0 :: v_dual_add_nc_u32 v90, 4, v58
	v_mul_lo_u32 v17, s3, v60
	v_add_nc_u32_e32 v89, 2, v58
	s_delay_alu instid0(VALU_DEP_3)
	v_dual_mov_b32 v68, v63 :: v_dual_add_nc_u32 v91, 6, v58
	v_lshlrev_b64 v[32:33], 4, v[62:63]
	v_mov_b32_e32 v66, v63
	v_mov_b32_e32 v59, v63
	v_mul_hi_u32 v93, 0xba2e8ba3, v90
	v_lshlrev_b64 v[34:35], 4, v[67:68]
	v_mul_hi_u32 v68, 0xba2e8ba3, v58
	v_add_co_u32 v32, vcc_lo, s4, v32
	v_lshlrev_b64 v[40:41], 4, v[65:66]
	v_mov_b32_e32 v65, v63
	v_add_co_ci_u32_e32 v33, vcc_lo, s5, v33, vcc_lo
	v_add_co_u32 v36, vcc_lo, s4, v34
	v_lshlrev_b64 v[42:43], 4, v[58:59]
	v_add_co_ci_u32_e32 v37, vcc_lo, s5, v35, vcc_lo
	v_add_co_u32 v40, vcc_lo, s4, v40
	v_lshlrev_b64 v[44:45], 4, v[64:65]
	v_add_co_ci_u32_e32 v41, vcc_lo, s5, v41, vcc_lo
	v_add_co_u32 v46, vcc_lo, s4, v42
	v_add_co_ci_u32_e32 v47, vcc_lo, s5, v43, vcc_lo
	s_delay_alu instid0(VALU_DEP_4)
	v_add_co_u32 v64, vcc_lo, s4, v44
	v_add_co_ci_u32_e32 v65, vcc_lo, s5, v45, vcc_lo
	s_clause 0x4
	global_load_b128 v[32:35], v[32:33], off
	global_load_b128 v[36:39], v[36:37], off
	global_load_b128 v[40:43], v[40:41], off
	global_load_b128 v[44:47], v[46:47], off
	global_load_b128 v[64:67], v[64:65], off
	v_mul_lo_u32 v59, s2, v61
	v_mad_u64_u32 v[61:62], null, s2, v60, 0
	v_add_nc_u32_e32 v60, 8, v58
	v_mul_hi_u32 v94, 0xba2e8ba3, v91
	v_mul_hi_u32 v92, 0xba2e8ba3, v89
	v_lshrrev_b32_e32 v68, 3, v68
	v_add3_u32 v62, v62, v59, v17
	s_waitcnt vmcnt(4)
	v_mul_f64 v[79:80], v[77:78], v[34:35]
	s_waitcnt lgkmcnt(0)
	v_mul_f64 v[34:35], v[30:31], v[34:35]
	s_waitcnt vmcnt(3)
	v_mul_f64 v[81:82], v[54:55], v[38:39]
	v_mul_f64 v[38:39], v[10:11], v[38:39]
	s_waitcnt vmcnt(1)
	v_mul_f64 v[85:86], v[48:49], v[46:47]
	;; [unrolled: 3-line block ×3, first 2 shown]
	v_mul_f64 v[66:67], v[6:7], v[66:67]
	v_mul_f64 v[83:84], v[52:53], v[42:43]
	;; [unrolled: 1-line block ×3, first 2 shown]
	v_fma_f64 v[30:31], v[30:31], v[32:33], v[79:80]
	v_fma_f64 v[32:33], v[77:78], v[32:33], -v[34:35]
	v_fma_f64 v[10:11], v[10:11], v[36:37], v[81:82]
	v_fma_f64 v[34:35], v[54:55], v[36:37], -v[38:39]
	;; [unrolled: 2-line block ×5, first 2 shown]
	v_mul_hi_u32 v6, 0xba2e8ba3, v60
	v_lshlrev_b64 v[4:5], 4, v[56:57]
	v_lshrrev_b32_e32 v56, 3, v93
	v_lshrrev_b32_e32 v57, 3, v94
	v_mul_lo_u32 v8, v68, 11
	v_lshrrev_b32_e32 v55, 3, v92
	s_delay_alu instid0(VALU_DEP_4)
	v_mul_lo_u32 v40, v56, 11
	v_lshrrev_b32_e32 v66, 3, v6
	v_mul_lo_u32 v41, v57, 11
	v_lshlrev_b64 v[6:7], 4, v[61:62]
	v_mul_lo_u32 v9, v55, 11
	v_sub_nc_u32_e32 v8, v58, v8
	v_mul_lo_u32 v42, v66, 11
	v_sub_nc_u32_e32 v52, v90, v40
	v_add_co_u32 v6, vcc_lo, s10, v6
	v_sub_nc_u32_e32 v53, v91, v41
	v_add_co_ci_u32_e32 v7, vcc_lo, s11, v7, vcc_lo
	v_lshlrev_b32_e32 v59, 4, v8
	v_sub_nc_u32_e32 v17, v89, v9
	v_sub_nc_u32_e32 v54, v60, v42
	v_add_co_u32 v4, vcc_lo, v6, v4
	v_add_co_ci_u32_e32 v5, vcc_lo, v7, v5, vcc_lo
	v_add_f64 v[8:9], v[28:29], -v[30:31]
	v_add_f64 v[6:7], v[75:76], -v[32:33]
	;; [unrolled: 1-line block ×10, first 2 shown]
	v_mad_u64_u32 v[46:47], null, v55, 22, v[17:18]
	v_mad_u64_u32 v[48:49], null, v56, 22, v[52:53]
	v_mov_b32_e32 v47, v63
	v_add_co_u32 v10, vcc_lo, v4, v59
	v_mad_u64_u32 v[59:60], null, v57, 22, v[53:54]
	v_dual_mov_b32 v49, v63 :: v_dual_add_nc_u32 v62, 11, v46
	v_add_co_ci_u32_e32 v11, vcc_lo, 0, v5, vcc_lo
	v_mad_u64_u32 v[64:65], null, v66, 22, v[54:55]
	s_delay_alu instid0(VALU_DEP_3)
	v_lshlrev_b64 v[67:68], 4, v[62:63]
	v_add_nc_u32_e32 v62, 11, v48
	v_lshlrev_b64 v[46:47], 4, v[46:47]
	v_lshlrev_b64 v[49:50], 4, v[48:49]
	v_mov_b32_e32 v60, v63
	v_mov_b32_e32 v65, v63
	s_delay_alu instid0(VALU_DEP_4)
	v_add_co_u32 v77, vcc_lo, v4, v46
	v_add_co_ci_u32_e32 v78, vcc_lo, v5, v47, vcc_lo
	v_add_co_u32 v79, vcc_lo, v4, v49
	v_add_co_ci_u32_e32 v80, vcc_lo, v5, v50, vcc_lo
	v_fma_f64 v[48:49], v[28:29], 2.0, -v[8:9]
	v_fma_f64 v[52:53], v[22:23], 2.0, -v[40:41]
	;; [unrolled: 1-line block ×10, first 2 shown]
	v_lshlrev_b64 v[60:61], 4, v[59:60]
	v_lshlrev_b64 v[65:66], 4, v[64:65]
	s_delay_alu instid0(VALU_DEP_2) | instskip(NEXT) | instid1(VALU_DEP_3)
	v_add_co_u32 v17, vcc_lo, v4, v60
	v_add_co_ci_u32_e32 v18, vcc_lo, v5, v61, vcc_lo
	s_delay_alu instid0(VALU_DEP_3)
	v_add_co_u32 v19, vcc_lo, v4, v65
	v_lshlrev_b64 v[60:61], 4, v[62:63]
	v_add_nc_u32_e32 v62, 11, v59
	v_add_co_ci_u32_e32 v20, vcc_lo, v5, v66, vcc_lo
	v_add_co_u32 v65, vcc_lo, v4, v67
	v_add_co_ci_u32_e32 v66, vcc_lo, v5, v68, vcc_lo
	s_delay_alu instid0(VALU_DEP_4) | instskip(SKIP_3) | instid1(VALU_DEP_3)
	v_lshlrev_b64 v[67:68], 4, v[62:63]
	v_add_nc_u32_e32 v62, 11, v64
	v_add_co_u32 v59, vcc_lo, v4, v60
	v_add_co_ci_u32_e32 v60, vcc_lo, v5, v61, vcc_lo
	v_lshlrev_b64 v[69:70], 4, v[62:63]
	v_add_nc_u32_e32 v62, 10, v58
	v_add_co_u32 v67, vcc_lo, v4, v67
	v_add_co_ci_u32_e32 v68, vcc_lo, v5, v68, vcc_lo
	s_delay_alu instid0(VALU_DEP_3) | instskip(SKIP_1) | instid1(VALU_DEP_1)
	v_cmp_gt_u32_e32 vcc_lo, 11, v62
	v_add_co_u32 v69, s0, v4, v69
	v_add_co_ci_u32_e64 v70, s0, v5, v70, s0
	s_clause 0x9
	global_store_b128 v[10:11], v[50:53], off
	global_store_b128 v[10:11], v[38:41], off offset:176
	global_store_b128 v[77:78], v[26:29], off
	global_store_b128 v[65:66], v[42:45], off
	;; [unrolled: 1-line block ×8, first 2 shown]
	s_and_b32 exec_lo, exec_lo, vcc_lo
	s_cbranch_execz .LBB0_20
; %bb.19:
	v_lshlrev_b32_e32 v6, 4, v16
	v_ashrrev_i32_e32 v59, 31, v58
	global_load_b128 v[6:9], v6, s[4:5]
	s_waitcnt vmcnt(0)
	v_mul_f64 v[10:11], v[2:3], v[8:9]
	v_mul_f64 v[8:9], v[14:15], v[8:9]
	s_delay_alu instid0(VALU_DEP_2) | instskip(NEXT) | instid1(VALU_DEP_2)
	v_fma_f64 v[10:11], v[14:15], v[6:7], -v[10:11]
	v_fma_f64 v[2:3], v[2:3], v[6:7], v[8:9]
	s_delay_alu instid0(VALU_DEP_2) | instskip(NEXT) | instid1(VALU_DEP_2)
	v_add_f64 v[6:7], v[12:13], -v[10:11]
	v_add_f64 v[8:9], v[0:1], -v[2:3]
	v_lshlrev_b64 v[2:3], 4, v[58:59]
	s_delay_alu instid0(VALU_DEP_3) | instskip(NEXT) | instid1(VALU_DEP_3)
	v_fma_f64 v[10:11], v[12:13], 2.0, -v[6:7]
	v_fma_f64 v[12:13], v[0:1], 2.0, -v[8:9]
	v_lshlrev_b64 v[0:1], 4, v[62:63]
	s_delay_alu instid0(VALU_DEP_1) | instskip(NEXT) | instid1(VALU_DEP_2)
	v_add_co_u32 v0, vcc_lo, v4, v0
	v_add_co_ci_u32_e32 v1, vcc_lo, v5, v1, vcc_lo
	v_add_co_u32 v2, vcc_lo, v4, v2
	v_add_co_ci_u32_e32 v3, vcc_lo, v5, v3, vcc_lo
	s_clause 0x1
	global_store_b128 v[0:1], v[10:13], off
	global_store_b128 v[2:3], v[6:9], off offset:336
.LBB0_20:
	s_nop 0
	s_sendmsg sendmsg(MSG_DEALLOC_VGPRS)
	s_endpgm
	.section	.rodata,"a",@progbits
	.p2align	6, 0x0
	.amdhsa_kernel fft_rtc_fwd_len22_factors_11_2_wgs_64_tpt_2_halfLds_dp_op_CI_CI_unitstride_sbrr_dirReg
		.amdhsa_group_segment_fixed_size 0
		.amdhsa_private_segment_fixed_size 0
		.amdhsa_kernarg_size 104
		.amdhsa_user_sgpr_count 15
		.amdhsa_user_sgpr_dispatch_ptr 0
		.amdhsa_user_sgpr_queue_ptr 0
		.amdhsa_user_sgpr_kernarg_segment_ptr 1
		.amdhsa_user_sgpr_dispatch_id 0
		.amdhsa_user_sgpr_private_segment_size 0
		.amdhsa_wavefront_size32 1
		.amdhsa_uses_dynamic_stack 0
		.amdhsa_enable_private_segment 0
		.amdhsa_system_sgpr_workgroup_id_x 1
		.amdhsa_system_sgpr_workgroup_id_y 0
		.amdhsa_system_sgpr_workgroup_id_z 0
		.amdhsa_system_sgpr_workgroup_info 0
		.amdhsa_system_vgpr_workitem_id 0
		.amdhsa_next_free_vgpr 134
		.amdhsa_next_free_sgpr 38
		.amdhsa_reserve_vcc 1
		.amdhsa_float_round_mode_32 0
		.amdhsa_float_round_mode_16_64 0
		.amdhsa_float_denorm_mode_32 3
		.amdhsa_float_denorm_mode_16_64 3
		.amdhsa_dx10_clamp 1
		.amdhsa_ieee_mode 1
		.amdhsa_fp16_overflow 0
		.amdhsa_workgroup_processor_mode 1
		.amdhsa_memory_ordered 1
		.amdhsa_forward_progress 0
		.amdhsa_shared_vgpr_count 0
		.amdhsa_exception_fp_ieee_invalid_op 0
		.amdhsa_exception_fp_denorm_src 0
		.amdhsa_exception_fp_ieee_div_zero 0
		.amdhsa_exception_fp_ieee_overflow 0
		.amdhsa_exception_fp_ieee_underflow 0
		.amdhsa_exception_fp_ieee_inexact 0
		.amdhsa_exception_int_div_zero 0
	.end_amdhsa_kernel
	.text
.Lfunc_end0:
	.size	fft_rtc_fwd_len22_factors_11_2_wgs_64_tpt_2_halfLds_dp_op_CI_CI_unitstride_sbrr_dirReg, .Lfunc_end0-fft_rtc_fwd_len22_factors_11_2_wgs_64_tpt_2_halfLds_dp_op_CI_CI_unitstride_sbrr_dirReg
                                        ; -- End function
	.section	.AMDGPU.csdata,"",@progbits
; Kernel info:
; codeLenInByte = 5884
; NumSgprs: 40
; NumVgprs: 134
; ScratchSize: 0
; MemoryBound: 1
; FloatMode: 240
; IeeeMode: 1
; LDSByteSize: 0 bytes/workgroup (compile time only)
; SGPRBlocks: 4
; VGPRBlocks: 16
; NumSGPRsForWavesPerEU: 40
; NumVGPRsForWavesPerEU: 134
; Occupancy: 10
; WaveLimiterHint : 1
; COMPUTE_PGM_RSRC2:SCRATCH_EN: 0
; COMPUTE_PGM_RSRC2:USER_SGPR: 15
; COMPUTE_PGM_RSRC2:TRAP_HANDLER: 0
; COMPUTE_PGM_RSRC2:TGID_X_EN: 1
; COMPUTE_PGM_RSRC2:TGID_Y_EN: 0
; COMPUTE_PGM_RSRC2:TGID_Z_EN: 0
; COMPUTE_PGM_RSRC2:TIDIG_COMP_CNT: 0
	.text
	.p2alignl 7, 3214868480
	.fill 96, 4, 3214868480
	.type	__hip_cuid_5bebb23217da0de6,@object ; @__hip_cuid_5bebb23217da0de6
	.section	.bss,"aw",@nobits
	.globl	__hip_cuid_5bebb23217da0de6
__hip_cuid_5bebb23217da0de6:
	.byte	0                               ; 0x0
	.size	__hip_cuid_5bebb23217da0de6, 1

	.ident	"AMD clang version 19.0.0git (https://github.com/RadeonOpenCompute/llvm-project roc-6.4.0 25133 c7fe45cf4b819c5991fe208aaa96edf142730f1d)"
	.section	".note.GNU-stack","",@progbits
	.addrsig
	.addrsig_sym __hip_cuid_5bebb23217da0de6
	.amdgpu_metadata
---
amdhsa.kernels:
  - .args:
      - .actual_access:  read_only
        .address_space:  global
        .offset:         0
        .size:           8
        .value_kind:     global_buffer
      - .offset:         8
        .size:           8
        .value_kind:     by_value
      - .actual_access:  read_only
        .address_space:  global
        .offset:         16
        .size:           8
        .value_kind:     global_buffer
      - .actual_access:  read_only
        .address_space:  global
        .offset:         24
        .size:           8
        .value_kind:     global_buffer
      - .actual_access:  read_only
        .address_space:  global
        .offset:         32
        .size:           8
        .value_kind:     global_buffer
      - .offset:         40
        .size:           8
        .value_kind:     by_value
      - .actual_access:  read_only
        .address_space:  global
        .offset:         48
        .size:           8
        .value_kind:     global_buffer
      - .actual_access:  read_only
        .address_space:  global
        .offset:         56
        .size:           8
        .value_kind:     global_buffer
      - .offset:         64
        .size:           4
        .value_kind:     by_value
      - .actual_access:  read_only
        .address_space:  global
        .offset:         72
        .size:           8
        .value_kind:     global_buffer
      - .actual_access:  read_only
        .address_space:  global
        .offset:         80
        .size:           8
        .value_kind:     global_buffer
      - .actual_access:  read_only
        .address_space:  global
        .offset:         88
        .size:           8
        .value_kind:     global_buffer
      - .actual_access:  write_only
        .address_space:  global
        .offset:         96
        .size:           8
        .value_kind:     global_buffer
    .group_segment_fixed_size: 0
    .kernarg_segment_align: 8
    .kernarg_segment_size: 104
    .language:       OpenCL C
    .language_version:
      - 2
      - 0
    .max_flat_workgroup_size: 64
    .name:           fft_rtc_fwd_len22_factors_11_2_wgs_64_tpt_2_halfLds_dp_op_CI_CI_unitstride_sbrr_dirReg
    .private_segment_fixed_size: 0
    .sgpr_count:     40
    .sgpr_spill_count: 0
    .symbol:         fft_rtc_fwd_len22_factors_11_2_wgs_64_tpt_2_halfLds_dp_op_CI_CI_unitstride_sbrr_dirReg.kd
    .uniform_work_group_size: 1
    .uses_dynamic_stack: false
    .vgpr_count:     134
    .vgpr_spill_count: 0
    .wavefront_size: 32
    .workgroup_processor_mode: 1
amdhsa.target:   amdgcn-amd-amdhsa--gfx1100
amdhsa.version:
  - 1
  - 2
...

	.end_amdgpu_metadata
